;; amdgpu-corpus repo=ROCm/rocFFT kind=compiled arch=gfx1030 opt=O3
	.text
	.amdgcn_target "amdgcn-amd-amdhsa--gfx1030"
	.amdhsa_code_object_version 6
	.protected	fft_rtc_fwd_len726_factors_11_6_11_wgs_132_tpt_66_half_ip_CI_unitstride_sbrr_C2R_dirReg ; -- Begin function fft_rtc_fwd_len726_factors_11_6_11_wgs_132_tpt_66_half_ip_CI_unitstride_sbrr_C2R_dirReg
	.globl	fft_rtc_fwd_len726_factors_11_6_11_wgs_132_tpt_66_half_ip_CI_unitstride_sbrr_C2R_dirReg
	.p2align	8
	.type	fft_rtc_fwd_len726_factors_11_6_11_wgs_132_tpt_66_half_ip_CI_unitstride_sbrr_C2R_dirReg,@function
fft_rtc_fwd_len726_factors_11_6_11_wgs_132_tpt_66_half_ip_CI_unitstride_sbrr_C2R_dirReg: ; @fft_rtc_fwd_len726_factors_11_6_11_wgs_132_tpt_66_half_ip_CI_unitstride_sbrr_C2R_dirReg
; %bb.0:
	s_clause 0x2
	s_load_dwordx4 s[8:11], s[4:5], 0x0
	s_load_dwordx2 s[2:3], s[4:5], 0x50
	s_load_dwordx2 s[12:13], s[4:5], 0x18
	v_mul_u32_u24_e32 v1, 0x3e1, v0
	v_mov_b32_e32 v3, 0
	v_lshrrev_b32_e32 v9, 16, v1
	v_mov_b32_e32 v1, 0
	v_mov_b32_e32 v6, v3
	v_mov_b32_e32 v2, 0
	v_lshl_add_u32 v5, s6, 1, v9
	s_waitcnt lgkmcnt(0)
	v_cmp_lt_u64_e64 s0, s[10:11], 2
	s_and_b32 vcc_lo, exec_lo, s0
	s_cbranch_vccnz .LBB0_8
; %bb.1:
	s_load_dwordx2 s[0:1], s[4:5], 0x10
	v_mov_b32_e32 v1, 0
	s_add_u32 s6, s12, 8
	v_mov_b32_e32 v2, 0
	s_addc_u32 s7, s13, 0
	s_mov_b64 s[16:17], 1
	s_waitcnt lgkmcnt(0)
	s_add_u32 s14, s0, 8
	s_addc_u32 s15, s1, 0
.LBB0_2:                                ; =>This Inner Loop Header: Depth=1
	s_load_dwordx2 s[18:19], s[14:15], 0x0
                                        ; implicit-def: $vgpr7_vgpr8
	s_mov_b32 s0, exec_lo
	s_waitcnt lgkmcnt(0)
	v_or_b32_e32 v4, s19, v6
	v_cmpx_ne_u64_e32 0, v[3:4]
	s_xor_b32 s1, exec_lo, s0
	s_cbranch_execz .LBB0_4
; %bb.3:                                ;   in Loop: Header=BB0_2 Depth=1
	v_cvt_f32_u32_e32 v4, s18
	v_cvt_f32_u32_e32 v7, s19
	s_sub_u32 s0, 0, s18
	s_subb_u32 s20, 0, s19
	v_fmac_f32_e32 v4, 0x4f800000, v7
	v_rcp_f32_e32 v4, v4
	v_mul_f32_e32 v4, 0x5f7ffffc, v4
	v_mul_f32_e32 v7, 0x2f800000, v4
	v_trunc_f32_e32 v7, v7
	v_fmac_f32_e32 v4, 0xcf800000, v7
	v_cvt_u32_f32_e32 v7, v7
	v_cvt_u32_f32_e32 v4, v4
	v_mul_lo_u32 v8, s0, v7
	v_mul_hi_u32 v10, s0, v4
	v_mul_lo_u32 v11, s20, v4
	v_add_nc_u32_e32 v8, v10, v8
	v_mul_lo_u32 v10, s0, v4
	v_add_nc_u32_e32 v8, v8, v11
	v_mul_hi_u32 v11, v4, v10
	v_mul_lo_u32 v12, v4, v8
	v_mul_hi_u32 v13, v4, v8
	v_mul_hi_u32 v14, v7, v10
	v_mul_lo_u32 v10, v7, v10
	v_mul_hi_u32 v15, v7, v8
	v_mul_lo_u32 v8, v7, v8
	v_add_co_u32 v11, vcc_lo, v11, v12
	v_add_co_ci_u32_e32 v12, vcc_lo, 0, v13, vcc_lo
	v_add_co_u32 v10, vcc_lo, v11, v10
	v_add_co_ci_u32_e32 v10, vcc_lo, v12, v14, vcc_lo
	v_add_co_ci_u32_e32 v11, vcc_lo, 0, v15, vcc_lo
	v_add_co_u32 v8, vcc_lo, v10, v8
	v_add_co_ci_u32_e32 v10, vcc_lo, 0, v11, vcc_lo
	v_add_co_u32 v4, vcc_lo, v4, v8
	v_add_co_ci_u32_e32 v7, vcc_lo, v7, v10, vcc_lo
	v_mul_hi_u32 v8, s0, v4
	v_mul_lo_u32 v11, s20, v4
	v_mul_lo_u32 v10, s0, v7
	v_add_nc_u32_e32 v8, v8, v10
	v_mul_lo_u32 v10, s0, v4
	v_add_nc_u32_e32 v8, v8, v11
	v_mul_hi_u32 v11, v4, v10
	v_mul_lo_u32 v12, v4, v8
	v_mul_hi_u32 v13, v4, v8
	v_mul_hi_u32 v14, v7, v10
	v_mul_lo_u32 v10, v7, v10
	v_mul_hi_u32 v15, v7, v8
	v_mul_lo_u32 v8, v7, v8
	v_add_co_u32 v11, vcc_lo, v11, v12
	v_add_co_ci_u32_e32 v12, vcc_lo, 0, v13, vcc_lo
	v_add_co_u32 v10, vcc_lo, v11, v10
	v_add_co_ci_u32_e32 v10, vcc_lo, v12, v14, vcc_lo
	v_add_co_ci_u32_e32 v11, vcc_lo, 0, v15, vcc_lo
	v_add_co_u32 v8, vcc_lo, v10, v8
	v_add_co_ci_u32_e32 v10, vcc_lo, 0, v11, vcc_lo
	v_add_co_u32 v4, vcc_lo, v4, v8
	v_add_co_ci_u32_e32 v12, vcc_lo, v7, v10, vcc_lo
	v_mul_hi_u32 v14, v5, v4
	v_mad_u64_u32 v[10:11], null, v6, v4, 0
	v_mad_u64_u32 v[7:8], null, v5, v12, 0
	;; [unrolled: 1-line block ×3, first 2 shown]
	v_add_co_u32 v4, vcc_lo, v14, v7
	v_add_co_ci_u32_e32 v7, vcc_lo, 0, v8, vcc_lo
	v_add_co_u32 v4, vcc_lo, v4, v10
	v_add_co_ci_u32_e32 v4, vcc_lo, v7, v11, vcc_lo
	v_add_co_ci_u32_e32 v7, vcc_lo, 0, v13, vcc_lo
	v_add_co_u32 v4, vcc_lo, v4, v12
	v_add_co_ci_u32_e32 v10, vcc_lo, 0, v7, vcc_lo
	v_mul_lo_u32 v11, s19, v4
	v_mad_u64_u32 v[7:8], null, s18, v4, 0
	v_mul_lo_u32 v12, s18, v10
	v_sub_co_u32 v7, vcc_lo, v5, v7
	v_add3_u32 v8, v8, v12, v11
	v_sub_nc_u32_e32 v11, v6, v8
	v_subrev_co_ci_u32_e64 v11, s0, s19, v11, vcc_lo
	v_add_co_u32 v12, s0, v4, 2
	v_add_co_ci_u32_e64 v13, s0, 0, v10, s0
	v_sub_co_u32 v14, s0, v7, s18
	v_sub_co_ci_u32_e32 v8, vcc_lo, v6, v8, vcc_lo
	v_subrev_co_ci_u32_e64 v11, s0, 0, v11, s0
	v_cmp_le_u32_e32 vcc_lo, s18, v14
	v_cmp_eq_u32_e64 s0, s19, v8
	v_cndmask_b32_e64 v14, 0, -1, vcc_lo
	v_cmp_le_u32_e32 vcc_lo, s19, v11
	v_cndmask_b32_e64 v15, 0, -1, vcc_lo
	v_cmp_le_u32_e32 vcc_lo, s18, v7
	;; [unrolled: 2-line block ×3, first 2 shown]
	v_cndmask_b32_e64 v16, 0, -1, vcc_lo
	v_cmp_eq_u32_e32 vcc_lo, s19, v11
	v_cndmask_b32_e64 v7, v16, v7, s0
	v_cndmask_b32_e32 v11, v15, v14, vcc_lo
	v_add_co_u32 v14, vcc_lo, v4, 1
	v_add_co_ci_u32_e32 v15, vcc_lo, 0, v10, vcc_lo
	v_cmp_ne_u32_e32 vcc_lo, 0, v11
	v_cndmask_b32_e32 v8, v15, v13, vcc_lo
	v_cndmask_b32_e32 v11, v14, v12, vcc_lo
	v_cmp_ne_u32_e32 vcc_lo, 0, v7
	v_cndmask_b32_e32 v8, v10, v8, vcc_lo
	v_cndmask_b32_e32 v7, v4, v11, vcc_lo
.LBB0_4:                                ;   in Loop: Header=BB0_2 Depth=1
	s_andn2_saveexec_b32 s0, s1
	s_cbranch_execz .LBB0_6
; %bb.5:                                ;   in Loop: Header=BB0_2 Depth=1
	v_cvt_f32_u32_e32 v4, s18
	s_sub_i32 s1, 0, s18
	v_rcp_iflag_f32_e32 v4, v4
	v_mul_f32_e32 v4, 0x4f7ffffe, v4
	v_cvt_u32_f32_e32 v4, v4
	v_mul_lo_u32 v7, s1, v4
	v_mul_hi_u32 v7, v4, v7
	v_add_nc_u32_e32 v4, v4, v7
	v_mul_hi_u32 v4, v5, v4
	v_mul_lo_u32 v7, v4, s18
	v_add_nc_u32_e32 v8, 1, v4
	v_sub_nc_u32_e32 v7, v5, v7
	v_subrev_nc_u32_e32 v10, s18, v7
	v_cmp_le_u32_e32 vcc_lo, s18, v7
	v_cndmask_b32_e32 v7, v7, v10, vcc_lo
	v_cndmask_b32_e32 v4, v4, v8, vcc_lo
	v_cmp_le_u32_e32 vcc_lo, s18, v7
	v_add_nc_u32_e32 v8, 1, v4
	v_cndmask_b32_e32 v7, v4, v8, vcc_lo
	v_mov_b32_e32 v8, v3
.LBB0_6:                                ;   in Loop: Header=BB0_2 Depth=1
	s_or_b32 exec_lo, exec_lo, s0
	s_load_dwordx2 s[0:1], s[6:7], 0x0
	v_mul_lo_u32 v4, v8, s18
	v_mul_lo_u32 v12, v7, s19
	v_mad_u64_u32 v[10:11], null, v7, s18, 0
	s_add_u32 s16, s16, 1
	s_addc_u32 s17, s17, 0
	s_add_u32 s6, s6, 8
	s_addc_u32 s7, s7, 0
	;; [unrolled: 2-line block ×3, first 2 shown]
	v_add3_u32 v4, v11, v12, v4
	v_sub_co_u32 v5, vcc_lo, v5, v10
	v_sub_co_ci_u32_e32 v4, vcc_lo, v6, v4, vcc_lo
	s_waitcnt lgkmcnt(0)
	v_mul_lo_u32 v6, s1, v5
	v_mul_lo_u32 v4, s0, v4
	v_mad_u64_u32 v[1:2], null, s0, v5, v[1:2]
	v_cmp_ge_u64_e64 s0, s[16:17], s[10:11]
	s_and_b32 vcc_lo, exec_lo, s0
	v_add3_u32 v2, v6, v2, v4
	s_cbranch_vccnz .LBB0_9
; %bb.7:                                ;   in Loop: Header=BB0_2 Depth=1
	v_mov_b32_e32 v5, v7
	v_mov_b32_e32 v6, v8
	s_branch .LBB0_2
.LBB0_8:
	v_mov_b32_e32 v8, v6
	v_mov_b32_e32 v7, v5
.LBB0_9:
	s_lshl_b64 s[0:1], s[10:11], 3
	v_mul_hi_u32 v4, 0x3e0f83f, v0
	s_add_u32 s0, s12, s0
	s_addc_u32 s1, s13, s1
	s_load_dwordx2 s[0:1], s[0:1], 0x0
	s_load_dwordx2 s[4:5], s[4:5], 0x20
	v_mul_u32_u24_e32 v4, 0x42, v4
	s_waitcnt lgkmcnt(0)
	v_mad_u64_u32 v[2:3], null, s0, v7, v[1:2]
	v_and_b32_e32 v1, 1, v9
	v_mul_lo_u32 v5, s0, v8
	v_mul_lo_u32 v6, s1, v7
	v_cmp_eq_u32_e32 vcc_lo, 1, v1
	v_add3_u32 v3, v6, v3, v5
	v_cndmask_b32_e64 v1, 0, 0x2d7, vcc_lo
	v_cmp_gt_u64_e32 vcc_lo, s[4:5], v[7:8]
	v_sub_nc_u32_e32 v8, v0, v4
	v_lshlrev_b64 v[10:11], 2, v[2:3]
	v_lshlrev_b32_e32 v14, 2, v1
	s_and_saveexec_b32 s1, vcc_lo
	s_cbranch_execz .LBB0_13
; %bb.10:
	v_mov_b32_e32 v9, 0
	v_add_co_u32 v0, s0, s2, v10
	v_add_co_ci_u32_e64 v2, s0, s3, v11, s0
	v_lshlrev_b64 v[3:4], 2, v[8:9]
	s_mov_b32 s4, exec_lo
	v_add_co_u32 v3, s0, v0, v3
	v_add_co_ci_u32_e64 v4, s0, v2, v4, s0
	v_add_co_u32 v5, s0, 0x800, v3
	v_add_co_ci_u32_e64 v6, s0, 0, v4, s0
	s_clause 0xa
	global_load_dword v7, v[3:4], off
	global_load_dword v9, v[3:4], off offset:264
	global_load_dword v12, v[3:4], off offset:528
	;; [unrolled: 1-line block ×10, first 2 shown]
	v_lshlrev_b32_e32 v3, 2, v8
	v_add3_u32 v3, 0, v14, v3
	v_add_nc_u32_e32 v6, 0x400, v3
	v_add_nc_u32_e32 v20, 0x800, v3
	s_waitcnt vmcnt(9)
	ds_write2_b32 v3, v7, v9 offset1:66
	s_waitcnt vmcnt(7)
	ds_write2_b32 v3, v12, v13 offset0:132 offset1:198
	s_waitcnt vmcnt(5)
	ds_write2_b32 v6, v15, v16 offset0:8 offset1:74
	;; [unrolled: 2-line block ×4, first 2 shown]
	s_waitcnt vmcnt(0)
	ds_write_b32 v3, v5 offset:2640
	v_cmpx_eq_u32_e32 0x41, v8
	s_cbranch_execz .LBB0_12
; %bb.11:
	v_add_co_u32 v4, s0, 0x800, v0
	v_add_co_ci_u32_e64 v5, s0, 0, v2, s0
	v_mov_b32_e32 v8, 0x41
	global_load_dword v0, v[4:5], off offset:856
	s_waitcnt vmcnt(0)
	ds_write_b32 v3, v0 offset:2644
.LBB0_12:
	s_or_b32 exec_lo, exec_lo, s4
.LBB0_13:
	s_or_b32 exec_lo, exec_lo, s1
	v_lshl_add_u32 v24, v1, 2, 0
	v_lshlrev_b32_e32 v2, 2, v8
	s_waitcnt lgkmcnt(0)
	s_barrier
	buffer_gl0_inv
	s_add_u32 s1, s8, 0xb2c
	v_add_nc_u32_e32 v25, v24, v2
	v_sub_nc_u32_e32 v3, v24, v2
	s_addc_u32 s4, s9, 0
	s_mov_b32 s5, exec_lo
	ds_read_u16 v6, v25
	ds_read_u16 v7, v3 offset:2904
                                        ; implicit-def: $vgpr0_vgpr1
	s_waitcnt lgkmcnt(0)
	v_add_f16_e32 v5, v7, v6
	v_sub_f16_e32 v4, v6, v7
	v_cmpx_ne_u32_e32 0, v8
	s_xor_b32 s5, exec_lo, s5
	s_cbranch_execz .LBB0_15
; %bb.14:
	v_mov_b32_e32 v9, 0
	v_add_f16_e32 v5, v7, v6
	v_sub_f16_e32 v6, v6, v7
	v_lshlrev_b64 v[0:1], 2, v[8:9]
	v_add_co_u32 v0, s0, s1, v0
	v_add_co_ci_u32_e64 v1, s0, s4, v1, s0
	global_load_dword v0, v[0:1], off
	ds_read_u16 v1, v3 offset:2906
	ds_read_u16 v4, v25 offset:2
	s_waitcnt lgkmcnt(0)
	v_add_f16_e32 v7, v1, v4
	v_sub_f16_e32 v1, v4, v1
	s_waitcnt vmcnt(0)
	v_lshrrev_b32_e32 v12, 16, v0
	v_fma_f16 v13, -v6, v12, v5
	v_fma_f16 v15, v7, v12, -v1
	v_fma_f16 v4, v7, v12, v1
	v_fma_f16 v5, v6, v12, v5
	v_fmac_f16_e32 v13, v0, v7
	v_fmac_f16_e32 v15, v6, v0
	;; [unrolled: 1-line block ×3, first 2 shown]
	v_fma_f16 v5, -v0, v7, v5
	v_mov_b32_e32 v0, v8
	v_mov_b32_e32 v1, v9
	v_pack_b32_f16 v6, v13, v15
	ds_write_b32 v3, v6 offset:2904
.LBB0_15:
	s_andn2_saveexec_b32 s0, s5
	s_cbranch_execz .LBB0_17
; %bb.16:
	ds_read_b32 v0, v24 offset:1452
	s_waitcnt lgkmcnt(0)
	v_pk_mul_f16 v6, 0xc0004000, v0
	v_mov_b32_e32 v0, 0
	v_mov_b32_e32 v1, 0
	ds_write_b32 v24, v6 offset:1452
.LBB0_17:
	s_or_b32 exec_lo, exec_lo, s0
	v_lshlrev_b64 v[0:1], 2, v[0:1]
	v_perm_b32 v4, v4, v5, 0x5040100
	v_add_co_u32 v0, s0, s1, v0
	v_add_co_ci_u32_e64 v1, s0, s4, v1, s0
	s_mov_b32 s1, exec_lo
	s_clause 0x3
	global_load_dword v6, v[0:1], off offset:264
	global_load_dword v7, v[0:1], off offset:528
	;; [unrolled: 1-line block ×4, first 2 shown]
	ds_write_b32 v25, v4
	ds_read_b32 v4, v25 offset:264
	ds_read_b32 v5, v3 offset:2640
	s_waitcnt lgkmcnt(0)
	v_add_f16_e32 v13, v4, v5
	v_add_f16_sdwa v15, v5, v4 dst_sel:DWORD dst_unused:UNUSED_PAD src0_sel:WORD_1 src1_sel:WORD_1
	v_sub_f16_e32 v16, v4, v5
	v_sub_f16_sdwa v4, v4, v5 dst_sel:DWORD dst_unused:UNUSED_PAD src0_sel:WORD_1 src1_sel:WORD_1
	s_waitcnt vmcnt(3)
	v_lshrrev_b32_e32 v17, 16, v6
	v_fma_f16 v5, v16, v17, v13
	v_fma_f16 v18, v15, v17, v4
	v_fma_f16 v13, -v16, v17, v13
	v_fma_f16 v4, v15, v17, -v4
	v_fma_f16 v5, -v6, v15, v5
	v_fmac_f16_e32 v18, v16, v6
	v_fmac_f16_e32 v13, v6, v15
	;; [unrolled: 1-line block ×3, first 2 shown]
	s_waitcnt vmcnt(2)
	v_lshrrev_b32_e32 v6, 16, v7
	v_pack_b32_f16 v5, v5, v18
	v_pack_b32_f16 v4, v13, v4
	ds_write_b32 v25, v5 offset:264
	ds_write_b32 v3, v4 offset:2640
	ds_read_b32 v4, v25 offset:528
	ds_read_b32 v5, v3 offset:2376
	s_waitcnt lgkmcnt(0)
	v_add_f16_e32 v13, v4, v5
	v_add_f16_sdwa v15, v5, v4 dst_sel:DWORD dst_unused:UNUSED_PAD src0_sel:WORD_1 src1_sel:WORD_1
	v_sub_f16_e32 v16, v4, v5
	v_sub_f16_sdwa v4, v4, v5 dst_sel:DWORD dst_unused:UNUSED_PAD src0_sel:WORD_1 src1_sel:WORD_1
	v_fma_f16 v5, v16, v6, v13
	v_fma_f16 v17, v15, v6, v4
	v_fma_f16 v13, -v16, v6, v13
	v_fma_f16 v4, v15, v6, -v4
	s_waitcnt vmcnt(1)
	v_lshrrev_b32_e32 v6, 16, v9
	v_fma_f16 v5, -v7, v15, v5
	v_fmac_f16_e32 v17, v16, v7
	v_fmac_f16_e32 v13, v7, v15
	;; [unrolled: 1-line block ×3, first 2 shown]
	v_pack_b32_f16 v5, v5, v17
	v_pack_b32_f16 v4, v13, v4
	ds_write_b32 v25, v5 offset:528
	ds_write_b32 v3, v4 offset:2376
	ds_read_b32 v4, v25 offset:792
	ds_read_b32 v5, v3 offset:2112
	s_waitcnt lgkmcnt(0)
	v_add_f16_e32 v7, v4, v5
	v_add_f16_sdwa v13, v5, v4 dst_sel:DWORD dst_unused:UNUSED_PAD src0_sel:WORD_1 src1_sel:WORD_1
	v_sub_f16_e32 v15, v4, v5
	v_sub_f16_sdwa v4, v4, v5 dst_sel:DWORD dst_unused:UNUSED_PAD src0_sel:WORD_1 src1_sel:WORD_1
	v_fma_f16 v5, v15, v6, v7
	v_fma_f16 v16, v13, v6, v4
	v_fma_f16 v7, -v15, v6, v7
	v_fma_f16 v4, v13, v6, -v4
	s_waitcnt vmcnt(0)
	v_lshrrev_b32_e32 v6, 16, v12
	v_fma_f16 v5, -v9, v13, v5
	v_fmac_f16_e32 v16, v15, v9
	v_fmac_f16_e32 v7, v9, v13
	v_fmac_f16_e32 v4, v15, v9
	v_pack_b32_f16 v5, v5, v16
	v_pack_b32_f16 v4, v7, v4
	ds_write_b32 v25, v5 offset:792
	ds_write_b32 v3, v4 offset:2112
	ds_read_b32 v4, v25 offset:1056
	ds_read_b32 v5, v3 offset:1848
	s_waitcnt lgkmcnt(0)
	v_add_f16_e32 v7, v4, v5
	v_add_f16_sdwa v9, v5, v4 dst_sel:DWORD dst_unused:UNUSED_PAD src0_sel:WORD_1 src1_sel:WORD_1
	v_sub_f16_e32 v13, v4, v5
	v_sub_f16_sdwa v4, v4, v5 dst_sel:DWORD dst_unused:UNUSED_PAD src0_sel:WORD_1 src1_sel:WORD_1
	v_fma_f16 v5, v13, v6, v7
	v_fma_f16 v15, v9, v6, v4
	v_fma_f16 v7, -v13, v6, v7
	v_fma_f16 v4, v9, v6, -v4
	v_fma_f16 v5, -v12, v9, v5
	v_fmac_f16_e32 v15, v13, v12
	v_fmac_f16_e32 v7, v12, v9
	v_fmac_f16_e32 v4, v13, v12
	v_pack_b32_f16 v5, v5, v15
	v_pack_b32_f16 v4, v7, v4
	ds_write_b32 v25, v5 offset:1056
	ds_write_b32 v3, v4 offset:1848
	v_cmpx_gt_u32_e32 33, v8
	s_cbranch_execz .LBB0_19
; %bb.18:
	global_load_dword v0, v[0:1], off offset:1320
	ds_read_b32 v1, v25 offset:1320
	ds_read_b32 v4, v3 offset:1584
	s_waitcnt lgkmcnt(0)
	v_add_f16_e32 v5, v1, v4
	v_add_f16_sdwa v6, v4, v1 dst_sel:DWORD dst_unused:UNUSED_PAD src0_sel:WORD_1 src1_sel:WORD_1
	v_sub_f16_e32 v7, v1, v4
	v_sub_f16_sdwa v1, v1, v4 dst_sel:DWORD dst_unused:UNUSED_PAD src0_sel:WORD_1 src1_sel:WORD_1
	s_waitcnt vmcnt(0)
	v_lshrrev_b32_e32 v9, 16, v0
	v_fma_f16 v4, v7, v9, v5
	v_fma_f16 v12, v6, v9, v1
	v_fma_f16 v5, -v7, v9, v5
	v_fma_f16 v1, v6, v9, -v1
	v_fma_f16 v4, -v0, v6, v4
	v_fmac_f16_e32 v12, v7, v0
	v_fmac_f16_e32 v5, v0, v6
	;; [unrolled: 1-line block ×3, first 2 shown]
	v_pack_b32_f16 v0, v4, v12
	v_pack_b32_f16 v1, v5, v1
	ds_write_b32 v25, v0 offset:1320
	ds_write_b32 v3, v1 offset:1584
.LBB0_19:
	s_or_b32 exec_lo, exec_lo, s1
	v_add3_u32 v9, 0, v2, v14
	s_waitcnt lgkmcnt(0)
	s_barrier
	buffer_gl0_inv
	s_barrier
	buffer_gl0_inv
	ds_read_b32 v19, v25
	ds_read2_b32 v[2:3], v9 offset0:66 offset1:132
	v_add_nc_u32_e32 v1, 0x800, v9
	v_add_nc_u32_e32 v0, 0x200, v9
	ds_read2_b32 v[4:5], v1 offset0:82 offset1:148
	ds_read2_b32 v[6:7], v0 offset0:70 offset1:136
	v_add_nc_u32_e32 v16, 0x400, v9
	v_add_nc_u32_e32 v17, 0x600, v9
	v_mov_b32_e32 v0, 0xb853
	v_mov_b32_e32 v22, 0xbb47
	;; [unrolled: 1-line block ×3, first 2 shown]
	ds_read2_b32 v[12:13], v16 offset0:74 offset1:140
	ds_read2_b32 v[17:18], v17 offset0:78 offset1:144
	v_mad_u32_u24 v23, v8, 40, v9
	s_waitcnt lgkmcnt(0)
	s_barrier
	buffer_gl0_inv
	v_mov_b32_e32 v20, 0xbbeb
	v_mov_b32_e32 v48, 0x3beb
	v_pk_add_f16 v26, v19, v2
	v_mov_b32_e32 v21, 0xb482
	v_mov_b32_e32 v49, 0x3853
	v_cmp_gt_u32_e64 s0, 55, v8
	v_pk_add_f16 v26, v26, v3
	v_pk_add_f16 v27, v2, v5 neg_lo:[0,1] neg_hi:[0,1]
	v_pk_add_f16 v28, v5, v2
	v_pk_add_f16 v29, v4, v3
	v_pk_add_f16 v30, v3, v4 neg_lo:[0,1] neg_hi:[0,1]
	v_pk_add_f16 v2, v26, v6
	v_mul_f16_sdwa v3, v27, v0 dst_sel:DWORD dst_unused:UNUSED_PAD src0_sel:WORD_1 src1_sel:DWORD
	v_lshrrev_b32_e32 v32, 16, v28
	v_mul_f16_e32 v35, 0xba0c, v27
	v_pk_mul_f16 v26, 0x3abb36a6, v28
	v_pk_add_f16 v2, v2, v7
	v_mul_f16_sdwa v22, v30, v22 dst_sel:DWORD dst_unused:UNUSED_PAD src0_sel:WORD_1 src1_sel:DWORD
	v_fma_f16 v37, v28, 0x3abb, -v3
	v_fmamk_f16 v42, v32, 0xb93d, v35
	v_mul_f16_e32 v33, 0xbbeb, v27
	v_pk_add_f16 v2, v2, v12
	v_mul_f16_sdwa v34, v27, v15 dst_sel:DWORD dst_unused:UNUSED_PAD src0_sel:WORD_1 src1_sel:DWORD
	v_pk_fma_f16 v38, 0xbb47b853, v27, v26 op_sel:[0,0,1] op_sel_hi:[1,1,0] neg_lo:[0,1,0] neg_hi:[0,1,0]
	v_pk_fma_f16 v26, 0xbb47b853, v27, v26 op_sel:[0,0,1] op_sel_hi:[1,1,0]
	v_add_f16_e32 v37, v19, v37
	v_pk_add_f16 v2, v2, v13
	v_fmac_f16_e32 v3, 0x3abb, v28
	v_fmamk_f16 v40, v32, 0xb08e, v33
	v_fma_f16 v41, v28, 0xb93d, -v34
	v_bfi_b32 v43, 0xffff, v26, v38
	v_pk_add_f16 v2, v2, v17
	v_mul_f16_sdwa v31, v27, v20 dst_sel:DWORD dst_unused:UNUSED_PAD src0_sel:WORD_1 src1_sel:DWORD
	v_add_f16_e32 v3, v19, v3
	v_lshrrev_b32_e32 v44, 16, v29
	v_mul_f16_e32 v45, 0x3482, v30
	v_pk_add_f16 v2, v2, v18
	v_fma_f16 v39, v28, 0xb08e, -v31
	v_fma_f16 v33, v32, 0xb08e, -v33
	v_mul_f16_sdwa v36, v27, v21 dst_sel:DWORD dst_unused:UNUSED_PAD src0_sel:WORD_1 src1_sel:DWORD
	v_fmac_f16_e32 v31, 0xb08e, v28
	v_pk_add_f16 v2, v2, v4
	v_add_f16_sdwa v4, v19, v40 dst_sel:DWORD dst_unused:UNUSED_PAD src0_sel:WORD_1 src1_sel:DWORD
	v_add_f16_e32 v40, v19, v41
	v_pk_add_f16 v41, v19, v43 op_sel:[1,0] op_sel_hi:[0,1]
	v_mov_b32_e32 v43, 0x3482
	v_pk_add_f16 v2, v2, v5
	v_add_f16_sdwa v5, v19, v42 dst_sel:DWORD dst_unused:UNUSED_PAD src0_sel:WORD_1 src1_sel:DWORD
	v_pk_mul_f16 v42, 0x36a6b93d, v29
	v_add_f16_e32 v39, v19, v39
	v_mul_f16_sdwa v43, v30, v43 dst_sel:DWORD dst_unused:UNUSED_PAD src0_sel:WORD_1 src1_sel:DWORD
	ds_write_b32 v23, v2
	v_fma_f16 v2, v29, 0x36a6, -v22
	v_fmac_f16_e32 v22, 0x36a6, v29
	v_add_f16_sdwa v33, v19, v33 dst_sel:DWORD dst_unused:UNUSED_PAD src0_sel:WORD_1 src1_sel:DWORD
	v_fma_f16 v47, v29, 0xbbad, -v43
	v_fma_f16 v32, v32, 0xb93d, -v35
	v_add_f16_e32 v2, v2, v37
	v_pk_fma_f16 v37, 0xba0cbb47, v30, v42 op_sel:[0,0,1] op_sel_hi:[1,1,0] neg_lo:[0,1,0] neg_hi:[0,1,0]
	v_pk_fma_f16 v42, 0xba0cbb47, v30, v42 op_sel:[0,0,1] op_sel_hi:[1,1,0]
	v_add_f16_e32 v3, v22, v3
	v_fmamk_f16 v22, v44, 0xbbad, v45
	v_fma_f16 v35, v28, 0xbbad, -v36
	v_add_f16_e32 v31, v19, v31
	v_bfi_b32 v46, 0xffff, v42, v37
	v_add_f16_e32 v39, v47, v39
	v_add_f16_e32 v4, v22, v4
	v_fma_f16 v22, v44, 0xbbad, -v45
	v_mul_f16_e32 v47, 0x3beb, v30
	v_pk_add_f16 v41, v46, v41
	v_mul_f16_sdwa v46, v30, v48 dst_sel:DWORD dst_unused:UNUSED_PAD src0_sel:WORD_1 src1_sel:DWORD
	v_fmac_f16_e32 v43, 0xbbad, v29
	v_add_f16_e32 v22, v22, v33
	v_fmac_f16_e32 v34, 0xb93d, v28
	v_add_f16_sdwa v32, v19, v32 dst_sel:DWORD dst_unused:UNUSED_PAD src0_sel:WORD_1 src1_sel:DWORD
	v_fma_f16 v45, v29, 0xb08e, -v46
	v_add_f16_e32 v35, v19, v35
	v_fmamk_f16 v48, v44, 0xb08e, v47
	v_add_f16_e32 v31, v43, v31
	v_fma_f16 v43, v44, 0xb08e, -v47
	v_add_f16_e32 v33, v45, v40
	v_mul_f16_sdwa v40, v30, v49 dst_sel:DWORD dst_unused:UNUSED_PAD src0_sel:WORD_1 src1_sel:DWORD
	v_pk_add_f16 v44, v6, v18 neg_lo:[0,1] neg_hi:[0,1]
	v_pk_add_f16 v6, v18, v6
	v_add_f16_e32 v34, v19, v34
	v_fmac_f16_e32 v46, 0xb08e, v29
	v_fma_f16 v18, v29, 0x3abb, -v40
	v_add_f16_e32 v32, v43, v32
	v_mul_f16_sdwa v43, v44, v20 dst_sel:DWORD dst_unused:UNUSED_PAD src0_sel:WORD_1 src1_sel:DWORD
	v_add_f16_e32 v5, v48, v5
	v_add_f16_e32 v34, v46, v34
	;; [unrolled: 1-line block ×3, first 2 shown]
	v_mov_b32_e32 v35, 0x3b47
	v_fma_f16 v46, v6, 0xb08e, -v43
	v_fmac_f16_e32 v36, 0xbbad, v28
	v_pk_mul_f16 v45, 0xb08ebbad, v6
	v_fmac_f16_e32 v43, 0xb08e, v6
	v_mul_f16_sdwa v48, v44, v35 dst_sel:DWORD dst_unused:UNUSED_PAD src0_sel:WORD_1 src1_sel:DWORD
	v_add_f16_e32 v2, v46, v2
	v_lshrrev_b32_e32 v49, 16, v6
	v_mul_f16_e32 v50, 0x3b47, v44
	v_add_f16_e32 v36, v19, v36
	v_fma_f16 v46, v6, 0x36a6, -v48
	v_fmac_f16_e32 v40, 0x3abb, v29
	v_pk_fma_f16 v47, 0x3482bbeb, v44, v45 op_sel:[0,0,1] op_sel_hi:[1,1,0] neg_lo:[0,1,0] neg_hi:[0,1,0]
	v_pk_fma_f16 v45, 0x3482bbeb, v44, v45 op_sel:[0,0,1] op_sel_hi:[1,1,0]
	v_add_f16_e32 v3, v43, v3
	v_add_f16_e32 v39, v46, v39
	v_fmamk_f16 v43, v49, 0x36a6, v50
	v_mul_f16_e32 v46, 0xb853, v44
	v_add_f16_e32 v36, v40, v36
	v_bfi_b32 v40, 0xffff, v45, v47
	v_fmac_f16_e32 v48, 0x36a6, v6
	v_add_f16_e32 v4, v43, v4
	v_fmamk_f16 v43, v49, 0x3abb, v46
	v_fma_f16 v50, v49, 0x36a6, -v50
	v_pk_add_f16 v40, v40, v41
	v_mul_f16_sdwa v41, v44, v0 dst_sel:DWORD dst_unused:UNUSED_PAD src0_sel:WORD_1 src1_sel:DWORD
	v_add_f16_e32 v31, v48, v31
	v_mul_f16_sdwa v48, v44, v15 dst_sel:DWORD dst_unused:UNUSED_PAD src0_sel:WORD_1 src1_sel:DWORD
	v_add_f16_e32 v5, v43, v5
	v_pk_add_f16 v43, v17, v7
	v_fma_f16 v51, v6, 0x3abb, -v41
	v_fmac_f16_e32 v41, 0x3abb, v6
	v_fma_f16 v46, v49, 0x3abb, -v46
	v_fma_f16 v49, v6, 0xb93d, -v48
	v_pk_add_f16 v7, v7, v17 neg_lo:[0,1] neg_hi:[0,1]
	v_pk_mul_f16 v17, 0xb93db08e, v43
	v_add_f16_e32 v34, v41, v34
	v_add_f16_e32 v32, v46, v32
	;; [unrolled: 1-line block ×3, first 2 shown]
	v_fmac_f16_e32 v48, 0xb93d, v6
	v_mul_f16_sdwa v18, v7, v15 dst_sel:DWORD dst_unused:UNUSED_PAD src0_sel:WORD_1 src1_sel:DWORD
	v_pk_fma_f16 v46, 0x3bebba0c, v7, v17 op_sel:[0,0,1] op_sel_hi:[1,1,0] neg_lo:[0,1,0] neg_hi:[0,1,0]
	v_pk_fma_f16 v17, 0x3bebba0c, v7, v17 op_sel:[0,0,1] op_sel_hi:[1,1,0]
	v_add_f16_e32 v33, v51, v33
	v_add_f16_e32 v36, v48, v36
	v_fma_f16 v48, v43, 0xb93d, -v18
	v_fmac_f16_e32 v18, 0xb93d, v43
	v_bfi_b32 v49, 0xffff, v17, v46
	v_lshrrev_b32_e32 v51, 16, v43
	v_mul_f16_e32 v52, 0xb853, v7
	v_add_f16_e32 v2, v48, v2
	v_add_f16_e32 v3, v18, v3
	v_pk_add_f16 v18, v49, v40
	v_mul_f16_sdwa v48, v7, v21 dst_sel:DWORD dst_unused:UNUSED_PAD src0_sel:WORD_1 src1_sel:DWORD
	v_fmamk_f16 v40, v51, 0x3abb, v52
	v_mul_f16_sdwa v0, v7, v0 dst_sel:DWORD dst_unused:UNUSED_PAD src0_sel:WORD_1 src1_sel:DWORD
	v_add_f16_e32 v22, v50, v22
	v_mul_f16_e32 v49, 0xb482, v7
	v_add_f16_sdwa v38, v19, v38 dst_sel:DWORD dst_unused:UNUSED_PAD src0_sel:WORD_1 src1_sel:DWORD
	v_add_f16_e32 v4, v40, v4
	v_fma_f16 v40, v43, 0xbbad, -v48
	v_fma_f16 v50, v43, 0x3abb, -v0
	v_fmac_f16_e32 v0, 0x3abb, v43
	v_fmac_f16_e32 v48, 0xbbad, v43
	v_add_f16_sdwa v26, v19, v26 dst_sel:DWORD dst_unused:UNUSED_PAD src0_sel:DWORD src1_sel:WORD_1
	v_add_f16_e32 v33, v40, v33
	v_pk_add_f16 v40, v12, v13 neg_lo:[0,1] neg_hi:[0,1]
	v_add_f16_e32 v31, v0, v31
	v_mul_f16_sdwa v0, v7, v35 dst_sel:DWORD dst_unused:UNUSED_PAD src0_sel:WORD_1 src1_sel:DWORD
	v_add_f16_e32 v34, v48, v34
	v_fma_f16 v48, v51, 0xbbad, -v49
	v_pk_add_f16 v12, v13, v12
	v_mul_f16_sdwa v13, v40, v21 dst_sel:DWORD dst_unused:UNUSED_PAD src0_sel:WORD_1 src1_sel:DWORD
	v_fma_f16 v21, v43, 0x36a6, -v0
	v_fmac_f16_e32 v0, 0x36a6, v43
	v_add_f16_e32 v32, v48, v32
	v_add_f16_e32 v39, v50, v39
	v_fma_f16 v48, v12, 0xbbad, -v13
	v_fmac_f16_e32 v13, 0xbbad, v12
	v_add_f16_e32 v36, v0, v36
	v_add_f16_e32 v0, v37, v38
	v_pk_mul_f16 v37, 0xbbad3abb, v12
	v_add_f16_e32 v38, v48, v2
	v_add_f16_sdwa v2, v42, v26 dst_sel:DWORD dst_unused:UNUSED_PAD src0_sel:WORD_1 src1_sel:DWORD
	v_fma_f16 v50, v51, 0x3abb, -v52
	v_add_f16_e32 v26, v47, v0
	v_pk_fma_f16 v42, 0x3853b482, v40, v37 op_sel:[0,0,1] op_sel_hi:[1,1,0] neg_lo:[0,1,0] neg_hi:[0,1,0]
	v_pk_fma_f16 v37, 0x3853b482, v40, v37 op_sel:[0,0,1] op_sel_hi:[1,1,0]
	v_add_f16_sdwa v2, v45, v2 dst_sel:DWORD dst_unused:UNUSED_PAD src0_sel:WORD_1 src1_sel:DWORD
	v_add_f16_e32 v0, v13, v3
	v_add_f16_e32 v3, v46, v26
	v_mul_f16_sdwa v13, v40, v15 dst_sel:DWORD dst_unused:UNUSED_PAD src0_sel:WORD_1 src1_sel:DWORD
	v_lshrrev_b32_e32 v45, 16, v12
	v_add_f16_sdwa v2, v17, v2 dst_sel:DWORD dst_unused:UNUSED_PAD src0_sel:WORD_1 src1_sel:DWORD
	v_mul_f16_e32 v17, 0xba0c, v40
	v_add_f16_e32 v15, v42, v3
	v_fma_f16 v46, v12, 0xb93d, -v13
	v_add_f16_e32 v22, v50, v22
	v_add_f16_sdwa v3, v37, v2 dst_sel:DWORD dst_unused:UNUSED_PAD src0_sel:WORD_1 src1_sel:DWORD
	v_fmamk_f16 v2, v45, 0xb93d, v17
	v_bfi_b32 v26, 0xffff, v37, v42
	v_add_f16_e32 v37, v46, v39
	v_pk_mul_f16 v27, 0xb482bb47, v27 op_sel_hi:[1,0]
	v_fmac_f16_e32 v13, 0xb93d, v12
	v_add_f16_e32 v39, v2, v4
	v_fma_f16 v4, v45, 0xb93d, -v17
	v_fmamk_f16 v52, v51, 0xbbad, v49
	v_pk_add_f16 v26, v26, v18
	v_mul_f16_sdwa v18, v40, v35 dst_sel:DWORD dst_unused:UNUSED_PAD src0_sel:WORD_1 src1_sel:DWORD
	v_mul_f16_e32 v35, 0x3b47, v40
	v_add_f16_e32 v17, v4, v22
	v_pk_fma_f16 v4, 0xbbad36a6, v28, v27 op_sel:[0,1,0]
	v_pk_fma_f16 v27, 0xbbad36a6, v28, v27 op_sel:[0,1,0] neg_lo:[0,0,1] neg_hi:[0,0,1]
	v_pk_mul_f16 v28, 0x3853ba0c, v30 op_sel_hi:[1,0]
	v_add_f16_e32 v2, v13, v31
	v_add_f16_e32 v5, v52, v5
	v_pk_add_f16 v30, v19, v4
	v_pk_add_f16 v27, v19, v27 op_sel:[1,0]
	v_pk_fma_f16 v31, 0x3abbb93d, v29, v28 op_sel:[0,1,0]
	v_pk_fma_f16 v28, 0x3abbb93d, v29, v28 op_sel:[0,1,0] neg_lo:[0,0,1] neg_hi:[0,0,1]
	v_pk_mul_f16 v29, 0xba0c3482, v44 op_sel_hi:[1,0]
	v_add_f16_sdwa v4, v19, v4 dst_sel:DWORD dst_unused:UNUSED_PAD src0_sel:WORD_1 src1_sel:DWORD
	v_fma_f16 v42, v12, 0x36a6, -v18
	v_fmamk_f16 v13, v45, 0x36a6, v35
	v_fmac_f16_e32 v18, 0x36a6, v12
	v_pk_add_f16 v30, v31, v30
	v_pk_add_f16 v27, v28, v27
	v_pk_fma_f16 v28, 0xb93dbbad, v6, v29 op_sel:[0,1,0]
	v_pk_fma_f16 v6, 0xb93dbbad, v6, v29 op_sel:[0,1,0] neg_lo:[0,0,1] neg_hi:[0,0,1]
	v_pk_mul_f16 v7, 0x3b473beb, v7 op_sel_hi:[1,0]
	v_add_f16_e32 v4, v31, v4
	v_add_f16_e32 v13, v13, v5
	;; [unrolled: 1-line block ×3, first 2 shown]
	v_fma_f16 v18, v45, 0x36a6, -v35
	v_mul_f16_sdwa v19, v40, v20 dst_sel:DWORD dst_unused:UNUSED_PAD src0_sel:WORD_1 src1_sel:DWORD
	v_pk_add_f16 v20, v28, v30
	v_pk_add_f16 v6, v6, v27
	v_pk_fma_f16 v27, 0x36a6b08e, v43, v7 op_sel:[0,1,0]
	v_pk_fma_f16 v7, 0x36a6b08e, v43, v7 op_sel:[0,1,0] neg_lo:[0,0,1] neg_hi:[0,0,1]
	v_pk_mul_f16 v29, 0xb08e3abb, v12 op_sel:[0,1]
	v_add_f16_e32 v4, v28, v4
	v_pk_mul_f16 v28, 0xbbeb3853, v40 op_sel_hi:[1,0]
	v_add_f16_e32 v18, v18, v32
	v_mul_f16_e32 v32, 0xb08e, v12
	v_fmamk_f16 v30, v12, 0xb08e, v19
	v_bfi_b32 v19, 0xffff, v19, v20
	v_pk_add_f16 v6, v7, v6
	v_add_f16_e32 v4, v27, v4
	v_add_f16_e32 v7, v28, v29
	v_pk_fma_f16 v12, 0xb08e3abb, v12, v28 op_sel:[0,1,0] neg_lo:[0,0,1] neg_hi:[0,0,1]
	v_pk_add_f16 v31, v32, v19 neg_lo:[0,1] neg_hi:[0,1]
	v_pk_add_f16 v20, v27, v20
	v_bfi_b32 v21, 0xffff, v21, v28
	v_bfi_b32 v27, 0xffff, v41, v29
	v_add_f16_e32 v7, v7, v4
	v_add_f16_e32 v22, v42, v33
	;; [unrolled: 1-line block ×3, first 2 shown]
	v_pk_add_f16 v19, v12, v6
	v_bfi_b32 v6, 0xffff, v31, v20
	v_pk_add_f16 v12, v21, v27
	v_alignbit_b32 v7, v7, v26, 16
	v_pack_b32_f16 v20, v38, v26
	v_pack_b32_f16 v13, v22, v13
	v_pack_b32_f16 v21, v37, v39
	v_pk_add_f16 v6, v6, v12
	v_bfi_b32 v12, 0xffff, v4, v19
	v_pack_b32_f16 v22, v2, v17
	v_pack_b32_f16 v26, v5, v18
	;; [unrolled: 1-line block ×4, first 2 shown]
	ds_write2_b32 v23, v20, v7 offset0:1 offset1:2
	ds_write2_b32 v23, v21, v13 offset0:3 offset1:4
	;; [unrolled: 1-line block ×5, first 2 shown]
	s_waitcnt lgkmcnt(0)
	s_barrier
	buffer_gl0_inv
	ds_read2_b32 v[12:13], v9 offset0:121 offset1:242
	ds_read2_b32 v[6:7], v16 offset0:107 offset1:228
	ds_read_b32 v21, v25
	ds_read_b32 v22, v9 offset:2420
                                        ; implicit-def: $vgpr20
	s_and_saveexec_b32 s1, s0
	s_cbranch_execz .LBB0_21
; %bb.20:
	ds_read2_b32 v[4:5], v9 offset0:66 offset1:187
	ds_read2_b32 v[0:1], v1 offset0:38 offset1:159
	;; [unrolled: 1-line block ×3, first 2 shown]
	s_waitcnt lgkmcnt(2)
	v_mov_b32_e32 v19, v4
	s_waitcnt lgkmcnt(1)
	v_lshrrev_b32_e32 v15, 16, v0
	v_lshrrev_b32_e32 v20, 16, v1
	;; [unrolled: 1-line block ×3, first 2 shown]
	s_waitcnt lgkmcnt(0)
	v_lshrrev_b32_e32 v17, 16, v2
	ds_read_u16_d16 v19, v9 offset:1718
.LBB0_21:
	s_or_b32 exec_lo, exec_lo, s1
	v_and_b32_e32 v16, 0xff, v8
	s_waitcnt lgkmcnt(3)
	v_lshrrev_b32_e32 v35, 16, v13
	s_waitcnt lgkmcnt(2)
	v_lshrrev_b32_e32 v36, 16, v6
	v_lshrrev_b32_e32 v37, 16, v7
	s_waitcnt lgkmcnt(0)
	v_lshrrev_b32_e32 v38, 16, v22
	v_mul_lo_u16 v16, 0x75, v16
	v_lshrrev_b32_e32 v34, 16, v12
	v_lshrrev_b32_e32 v33, 16, v21
	v_lshrrev_b16 v16, 8, v16
	v_sub_nc_u16 v23, v8, v16
	v_lshrrev_b16 v23, 1, v23
	v_and_b32_e32 v23, 0x7f, v23
	v_add_nc_u16 v16, v23, v16
	v_lshrrev_b16 v23, 3, v16
	v_mov_b32_e32 v16, 5
	v_mul_lo_u16 v26, v23, 11
	v_and_b32_e32 v32, 0xffff, v23
	v_mov_b32_e32 v23, 2
	v_sub_nc_u16 v30, v8, v26
	v_mad_u32_u24 v32, 0x108, v32, 0
	v_mul_u32_u24_sdwa v26, v30, v16 dst_sel:DWORD dst_unused:UNUSED_PAD src0_sel:BYTE_0 src1_sel:DWORD
	v_lshlrev_b32_sdwa v30, v23, v30 dst_sel:DWORD dst_unused:UNUSED_PAD src0_sel:DWORD src1_sel:BYTE_0
	v_lshlrev_b32_e32 v31, 2, v26
	v_add3_u32 v30, v32, v30, v14
	s_clause 0x1
	global_load_dwordx4 v[26:29], v31, s[8:9]
	global_load_dword v31, v31, s[8:9] offset:16
	s_waitcnt vmcnt(0)
	s_barrier
	buffer_gl0_inv
	v_mul_f16_sdwa v40, v27, v35 dst_sel:DWORD dst_unused:UNUSED_PAD src0_sel:WORD_1 src1_sel:DWORD
	v_mul_f16_sdwa v41, v27, v13 dst_sel:DWORD dst_unused:UNUSED_PAD src0_sel:WORD_1 src1_sel:DWORD
	;; [unrolled: 1-line block ×10, first 2 shown]
	v_fma_f16 v13, v27, v13, -v40
	v_fmac_f16_e32 v41, v27, v35
	v_fma_f16 v6, v28, v6, -v42
	v_fmac_f16_e32 v43, v28, v36
	;; [unrolled: 2-line block ×5, first 2 shown]
	v_add_f16_e32 v27, v13, v7
	v_add_f16_e32 v31, v41, v45
	;; [unrolled: 1-line block ×5, first 2 shown]
	v_sub_f16_e32 v28, v41, v45
	v_add_f16_e32 v29, v33, v41
	v_sub_f16_e32 v13, v13, v7
	v_add_f16_e32 v32, v12, v6
	;; [unrolled: 2-line block ×3, first 2 shown]
	v_sub_f16_e32 v6, v6, v22
	v_fmac_f16_e32 v21, -0.5, v27
	v_fmac_f16_e32 v33, -0.5, v31
	;; [unrolled: 1-line block ×4, first 2 shown]
	v_add_f16_e32 v7, v26, v7
	v_add_f16_e32 v26, v29, v45
	;; [unrolled: 1-line block ×3, first 2 shown]
	v_fmamk_f16 v29, v28, 0x3aee, v21
	v_fmac_f16_e32 v21, 0xbaee, v28
	v_fmamk_f16 v28, v13, 0xbaee, v33
	v_fmac_f16_e32 v33, 0x3aee, v13
	v_fmamk_f16 v13, v35, 0x3aee, v12
	v_fmamk_f16 v31, v6, 0xbaee, v39
	v_fmac_f16_e32 v12, 0xbaee, v35
	v_fmac_f16_e32 v39, 0x3aee, v6
	v_add_f16_e32 v6, v7, v22
	v_sub_f16_e32 v7, v7, v22
	v_mul_f16_e32 v22, 0x3aee, v31
	v_mul_f16_e32 v35, 0xbaee, v13
	v_add_f16_e32 v27, v36, v47
	v_mul_f16_e32 v34, -0.5, v12
	v_mul_f16_e32 v36, -0.5, v39
	v_fmac_f16_e32 v22, 0.5, v13
	v_fmac_f16_e32 v35, 0.5, v31
	v_add_f16_e32 v32, v26, v27
	v_fmac_f16_e32 v34, 0x3aee, v39
	v_fmac_f16_e32 v36, 0xbaee, v12
	v_sub_f16_e32 v26, v26, v27
	v_add_f16_e32 v12, v29, v22
	v_add_f16_e32 v27, v28, v35
	v_add_f16_e32 v13, v21, v34
	v_add_f16_e32 v31, v33, v36
	v_sub_f16_e32 v22, v29, v22
	v_sub_f16_e32 v21, v21, v34
	;; [unrolled: 1-line block ×4, first 2 shown]
	v_pack_b32_f16 v6, v6, v32
	v_pack_b32_f16 v12, v12, v27
	;; [unrolled: 1-line block ×6, first 2 shown]
	ds_write2_b32 v30, v6, v12 offset1:11
	ds_write2_b32 v30, v13, v7 offset0:22 offset1:33
	ds_write2_b32 v30, v22, v21 offset0:44 offset1:55
	s_and_saveexec_b32 s1, s0
	s_cbranch_execz .LBB0_23
; %bb.22:
	v_add_nc_u16 v6, v8, 0x42
	v_lshrrev_b32_e32 v13, 16, v19
	v_and_b32_e32 v7, 0xff, v6
	v_mul_lo_u16 v7, 0x75, v7
	v_lshrrev_b16 v7, 8, v7
	v_sub_nc_u16 v12, v6, v7
	v_lshrrev_b16 v12, 1, v12
	v_and_b32_e32 v12, 0x7f, v12
	v_add_nc_u16 v7, v12, v7
	v_lshrrev_b16 v7, 3, v7
	v_mul_lo_u16 v12, v7, 11
	v_and_b32_e32 v7, 0xffff, v7
	v_sub_nc_u16 v6, v6, v12
	v_mad_u32_u24 v7, 0x108, v7, 0
	v_mul_u32_u24_sdwa v12, v6, v16 dst_sel:DWORD dst_unused:UNUSED_PAD src0_sel:BYTE_0 src1_sel:DWORD
	v_lshlrev_b32_sdwa v6, v23, v6 dst_sel:DWORD dst_unused:UNUSED_PAD src0_sel:DWORD src1_sel:BYTE_0
	v_lshlrev_b32_e32 v12, 2, v12
	v_add3_u32 v6, v7, v6, v14
	s_clause 0x1
	global_load_dwordx4 v[26:29], v12, s[8:9]
	global_load_dword v12, v12, s[8:9] offset:16
	s_waitcnt vmcnt(1)
	v_mul_f16_sdwa v16, v2, v27 dst_sel:DWORD dst_unused:UNUSED_PAD src0_sel:DWORD src1_sel:WORD_1
	v_mul_f16_sdwa v21, v0, v29 dst_sel:DWORD dst_unused:UNUSED_PAD src0_sel:DWORD src1_sel:WORD_1
	;; [unrolled: 1-line block ×3, first 2 shown]
	s_waitcnt vmcnt(0)
	v_mul_f16_sdwa v30, v20, v12 dst_sel:DWORD dst_unused:UNUSED_PAD src0_sel:DWORD src1_sel:WORD_1
	v_mul_f16_sdwa v31, v3, v28 dst_sel:DWORD dst_unused:UNUSED_PAD src0_sel:DWORD src1_sel:WORD_1
	;; [unrolled: 1-line block ×6, first 2 shown]
	v_fmac_f16_e32 v16, v17, v27
	v_fmac_f16_e32 v21, v15, v29
	v_fma_f16 v3, v3, v28, -v23
	v_fma_f16 v1, v1, v12, -v30
	v_fmac_f16_e32 v31, v19, v28
	v_fmac_f16_e32 v32, v20, v12
	v_mul_f16_sdwa v7, v17, v27 dst_sel:DWORD dst_unused:UNUSED_PAD src0_sel:DWORD src1_sel:WORD_1
	v_fma_f16 v0, v0, v29, -v14
	v_fma_f16 v5, v5, v26, -v22
	v_fmac_f16_e32 v33, v18, v26
	v_add_f16_e32 v12, v16, v21
	v_add_f16_e32 v14, v3, v1
	;; [unrolled: 1-line block ×3, first 2 shown]
	v_fma_f16 v2, v2, v27, -v7
	v_sub_f16_e32 v15, v31, v32
	v_sub_f16_e32 v17, v3, v1
	v_add_f16_e32 v19, v13, v16
	v_add_f16_e32 v20, v33, v31
	;; [unrolled: 1-line block ×3, first 2 shown]
	v_fma_f16 v12, -0.5, v12, v13
	v_fma_f16 v5, -0.5, v14, v5
	;; [unrolled: 1-line block ×3, first 2 shown]
	v_sub_f16_e32 v7, v2, v0
	v_add_f16_e32 v22, v2, v0
	v_add_f16_e32 v2, v4, v2
	;; [unrolled: 1-line block ×5, first 2 shown]
	v_fmamk_f16 v3, v15, 0xbaee, v5
	v_fmamk_f16 v19, v17, 0x3aee, v13
	v_fmac_f16_e32 v13, 0xbaee, v17
	v_fmac_f16_e32 v5, 0x3aee, v15
	v_sub_f16_e32 v16, v16, v21
	v_fma_f16 v4, -0.5, v22, v4
	v_add_f16_e32 v0, v2, v0
	v_fmamk_f16 v2, v7, 0x3aee, v12
	v_fmac_f16_e32 v12, 0xbaee, v7
	v_sub_f16_e32 v7, v14, v18
	v_add_f16_e32 v14, v14, v18
	v_mul_f16_e32 v18, 0xbaee, v5
	v_mul_f16_e32 v20, 0x3aee, v13
	v_fmamk_f16 v15, v16, 0xbaee, v4
	v_fmac_f16_e32 v4, 0x3aee, v16
	v_sub_f16_e32 v16, v0, v1
	v_mul_f16_e32 v17, -0.5, v19
	v_add_f16_e32 v0, v0, v1
	v_mul_f16_e32 v1, -0.5, v3
	v_fmac_f16_e32 v18, 0.5, v13
	v_fmac_f16_e32 v20, 0.5, v5
	v_fmac_f16_e32 v17, 0xbaee, v3
	v_pack_b32_f16 v0, v0, v14
	v_fmac_f16_e32 v1, 0x3aee, v19
	v_sub_f16_e32 v5, v12, v18
	v_add_f16_e32 v12, v12, v18
	v_add_f16_e32 v13, v4, v20
	v_sub_f16_e32 v3, v2, v17
	v_add_f16_e32 v2, v2, v17
	v_add_f16_e32 v14, v15, v1
	v_sub_f16_e32 v4, v4, v20
	v_sub_f16_e32 v1, v15, v1
	v_pack_b32_f16 v12, v13, v12
	v_pack_b32_f16 v7, v16, v7
	;; [unrolled: 1-line block ×5, first 2 shown]
	ds_write2_b32 v6, v0, v12 offset1:11
	ds_write2_b32 v6, v2, v7 offset0:22 offset1:33
	ds_write2_b32 v6, v4, v1 offset0:44 offset1:55
.LBB0_23:
	s_or_b32 exec_lo, exec_lo, s1
	v_mul_u32_u24_e32 v0, 10, v8
	s_waitcnt lgkmcnt(0)
	s_barrier
	buffer_gl0_inv
	v_add_nc_u32_e32 v26, 0x400, v9
	v_lshlrev_b32_e32 v12, 2, v0
	v_add_nc_u32_e32 v14, 0x600, v9
	v_add_nc_u32_e32 v27, 0x800, v9
	;; [unrolled: 1-line block ×3, first 2 shown]
	s_clause 0x2
	global_load_dwordx4 v[0:3], v12, s[8:9] offset:220
	global_load_dwordx4 v[4:7], v12, s[8:9] offset:236
	global_load_dwordx2 v[12:13], v12, s[8:9] offset:252
	ds_read2_b32 v[20:21], v9 offset0:66 offset1:132
	ds_read2_b32 v[18:19], v26 offset0:74 offset1:140
	;; [unrolled: 1-line block ×5, first 2 shown]
	ds_read_u16 v28, v9 offset:1322
	ds_read_b32 v25, v25
	s_waitcnt vmcnt(0) lgkmcnt(0)
	s_barrier
	buffer_gl0_inv
	v_lshrrev_b32_e32 v31, 16, v19
	v_lshrrev_b32_e32 v32, 16, v16
	;; [unrolled: 1-line block ×9, first 2 shown]
	v_mul_f16_sdwa v38, v0, v29 dst_sel:DWORD dst_unused:UNUSED_PAD src0_sel:WORD_1 src1_sel:DWORD
	v_mul_f16_sdwa v39, v0, v20 dst_sel:DWORD dst_unused:UNUSED_PAD src0_sel:WORD_1 src1_sel:DWORD
	;; [unrolled: 1-line block ×8, first 2 shown]
	v_mul_f16_sdwa v46, v28, v4 dst_sel:DWORD dst_unused:UNUSED_PAD src0_sel:DWORD src1_sel:WORD_1
	v_mul_f16_sdwa v47, v4, v18 dst_sel:DWORD dst_unused:UNUSED_PAD src0_sel:WORD_1 src1_sel:DWORD
	v_mul_f16_sdwa v48, v31, v5 dst_sel:DWORD dst_unused:UNUSED_PAD src0_sel:DWORD src1_sel:WORD_1
	v_mul_f16_sdwa v49, v19, v5 dst_sel:DWORD dst_unused:UNUSED_PAD src0_sel:DWORD src1_sel:WORD_1
	;; [unrolled: 1-line block ×10, first 2 shown]
	v_fma_f16 v20, v0, v20, -v38
	v_fmac_f16_e32 v39, v0, v29
	v_fma_f16 v0, v1, v21, -v40
	v_fmac_f16_e32 v41, v1, v30
	;; [unrolled: 2-line block ×8, first 2 shown]
	v_fma_f16 v7, v14, v12, -v54
	v_fma_f16 v14, v15, v13, -v56
	v_fmac_f16_e32 v57, v35, v13
	v_fmac_f16_e32 v55, v34, v12
	v_add_f16_e32 v12, v20, v25
	v_add_f16_sdwa v13, v39, v25 dst_sel:DWORD dst_unused:UNUSED_PAD src0_sel:DWORD src1_sel:WORD_1
	v_add_f16_e32 v19, v0, v7
	v_sub_f16_e32 v21, v0, v7
	v_sub_f16_e32 v17, v20, v14
	v_add_f16_e32 v0, v12, v0
	v_add_f16_e32 v12, v13, v41
	v_sub_f16_e32 v18, v39, v57
	v_add_f16_e32 v28, v1, v6
	v_sub_f16_e32 v29, v1, v6
	v_add_f16_e32 v0, v0, v1
	v_add_f16_e32 v1, v12, v43
	;; [unrolled: 1-line block ×5, first 2 shown]
	v_sub_f16_e32 v22, v41, v55
	v_sub_f16_e32 v23, v43, v53
	;; [unrolled: 1-line block ×6, first 2 shown]
	v_mul_f16_e32 v13, 0xb853, v18
	v_mul_f16_e32 v39, 0xb853, v17
	;; [unrolled: 1-line block ×10, first 2 shown]
	v_add_f16_e32 v0, v0, v2
	v_add_f16_e32 v1, v1, v45
	;; [unrolled: 1-line block ×7, first 2 shown]
	v_mul_f16_e32 v50, 0xbb47, v22
	v_mul_f16_e32 v52, 0xbb47, v21
	;; [unrolled: 1-line block ×40, first 2 shown]
	v_fma_f16 v86, v15, 0x3abb, -v13
	v_fmamk_f16 v87, v16, 0x3abb, v39
	v_fmac_f16_e32 v13, 0x3abb, v15
	v_fma_f16 v39, v16, 0x3abb, -v39
	v_fma_f16 v88, v15, 0x36a6, -v40
	v_fmamk_f16 v89, v16, 0x36a6, v41
	v_fmac_f16_e32 v40, 0x36a6, v15
	v_fma_f16 v41, v16, 0x36a6, -v41
	v_fma_f16 v90, v15, 0xb08e, -v42
	v_fmamk_f16 v91, v16, 0xb08e, v44
	v_fmac_f16_e32 v42, 0xb08e, v15
	v_fma_f16 v44, v16, 0xb08e, -v44
	v_fma_f16 v92, v15, 0xb93d, -v46
	v_fmamk_f16 v93, v16, 0xb93d, v48
	v_fmac_f16_e32 v46, 0xb93d, v15
	v_fma_f16 v48, v16, 0xb93d, -v48
	v_fma_f16 v94, v15, 0xbbad, -v18
	v_fmamk_f16 v95, v16, 0xbbad, v17
	v_fmac_f16_e32 v18, 0xbbad, v15
	v_fma_f16 v15, v16, 0xbbad, -v17
	v_add_f16_e32 v0, v0, v3
	v_add_f16_e32 v1, v1, v47
	v_fma_f16 v16, v19, 0x36a6, -v50
	v_fmac_f16_e32 v50, 0x36a6, v19
	v_fma_f16 v17, v19, 0xb93d, -v54
	v_fmac_f16_e32 v54, 0xb93d, v19
	v_fma_f16 v96, v19, 0xbbad, -v58
	v_fmac_f16_e32 v58, 0xbbad, v19
	v_fma_f16 v97, v19, 0xb08e, -v60
	v_fmac_f16_e32 v60, 0xb08e, v19
	v_fma_f16 v98, v19, 0x3abb, -v22
	v_fmac_f16_e32 v22, 0x3abb, v19
	v_fmamk_f16 v19, v20, 0x36a6, v52
	v_fma_f16 v52, v20, 0x36a6, -v52
	v_fmamk_f16 v99, v20, 0xb93d, v56
	v_fma_f16 v56, v20, 0xb93d, -v56
	v_fmamk_f16 v100, v20, 0xbbad, v59
	v_fma_f16 v59, v20, 0xbbad, -v59
	v_fmamk_f16 v101, v20, 0xb08e, v61
	v_fma_f16 v61, v20, 0xb08e, -v61
	v_fmamk_f16 v102, v20, 0x3abb, v21
	v_fma_f16 v20, v20, 0x3abb, -v21
	v_fma_f16 v21, v28, 0xb08e, -v62
	v_fmac_f16_e32 v62, 0xb08e, v28
	v_fma_f16 v103, v28, 0xbbad, -v63
	v_fmac_f16_e32 v63, 0xbbad, v28
	v_fma_f16 v104, v28, 0x36a6, -v64
	v_fmac_f16_e32 v64, 0x36a6, v28
	v_fma_f16 v105, v28, 0x3abb, -v65
	v_fmac_f16_e32 v65, 0x3abb, v28
	v_fma_f16 v106, v28, 0xb93d, -v23
	v_fmac_f16_e32 v23, 0xb93d, v28
	v_fmamk_f16 v12, v30, 0xb08e, v66
	v_fma_f16 v28, v30, 0xb08e, -v66
	v_fmamk_f16 v43, v30, 0xbbad, v67
	v_fma_f16 v66, v30, 0xbbad, -v67
	v_fmamk_f16 v67, v30, 0x36a6, v68
	v_fma_f16 v68, v30, 0x36a6, -v68
	v_fmamk_f16 v107, v30, 0x3abb, v69
	v_fma_f16 v69, v30, 0x3abb, -v69
	v_fmamk_f16 v108, v30, 0xb93d, v29
	v_fma_f16 v29, v30, 0xb93d, -v29
	v_fma_f16 v30, v32, 0xb93d, -v70
	v_fmac_f16_e32 v70, 0xb93d, v32
	v_fma_f16 v109, v32, 0xb08e, -v71
	v_fmac_f16_e32 v71, 0xb08e, v32
	v_fma_f16 v110, v32, 0x3abb, -v72
	v_fmac_f16_e32 v72, 0x3abb, v32
	v_fma_f16 v111, v32, 0xbbad, -v73
	v_fmac_f16_e32 v73, 0xbbad, v32
	v_fma_f16 v112, v32, 0x36a6, -v31
	v_fmac_f16_e32 v31, 0x36a6, v32
	v_fmamk_f16 v32, v34, 0xb93d, v74
	v_fma_f16 v74, v34, 0xb93d, -v74
	v_fmamk_f16 v113, v34, 0xb08e, v75
	v_fma_f16 v75, v34, 0xb08e, -v75
	v_fmamk_f16 v114, v34, 0x3abb, v76
	v_fma_f16 v76, v34, 0x3abb, -v76
	v_fmamk_f16 v115, v34, 0xbbad, v77
	v_fma_f16 v77, v34, 0xbbad, -v77
	v_fmamk_f16 v116, v34, 0x36a6, v33
	v_fma_f16 v33, v34, 0x36a6, -v33
	v_fma_f16 v34, v36, 0xbbad, -v78
	v_fmac_f16_e32 v78, 0xbbad, v36
	v_fma_f16 v117, v36, 0x3abb, -v79
	v_fmac_f16_e32 v79, 0x3abb, v36
	v_fma_f16 v118, v36, 0xb93d, -v80
	v_fmac_f16_e32 v80, 0xb93d, v36
	v_fma_f16 v119, v36, 0x36a6, -v81
	v_fmac_f16_e32 v81, 0x36a6, v36
	v_fma_f16 v120, v36, 0xb08e, -v35
	v_fmac_f16_e32 v35, 0xb08e, v36
	v_fmamk_f16 v36, v38, 0xbbad, v82
	v_fma_f16 v82, v38, 0xbbad, -v82
	v_fmamk_f16 v121, v38, 0x3abb, v83
	v_fma_f16 v83, v38, 0x3abb, -v83
	v_fmamk_f16 v122, v38, 0xb93d, v84
	v_fma_f16 v84, v38, 0xb93d, -v84
	v_fmamk_f16 v123, v38, 0x36a6, v85
	v_fma_f16 v85, v38, 0x36a6, -v85
	v_fmamk_f16 v124, v38, 0xb08e, v37
	v_fma_f16 v37, v38, 0xb08e, -v37
	v_add_f16_e32 v2, v86, v25
	v_add_f16_sdwa v38, v87, v25 dst_sel:DWORD dst_unused:UNUSED_PAD src0_sel:DWORD src1_sel:WORD_1
	v_add_f16_e32 v13, v13, v25
	v_add_f16_sdwa v39, v39, v25 dst_sel:DWORD dst_unused:UNUSED_PAD src0_sel:DWORD src1_sel:WORD_1
	;; [unrolled: 2-line block ×10, first 2 shown]
	v_add_f16_e32 v0, v0, v4
	v_add_f16_e32 v1, v1, v49
	;; [unrolled: 1-line block ×90, first 2 shown]
	v_pack_b32_f16 v2, v2, v3
	v_pack_b32_f16 v3, v6, v12
	;; [unrolled: 1-line block ×11, first 2 shown]
	ds_write2_b32 v9, v3, v6 offset0:132 offset1:198
	ds_write2_b32 v26, v7, v12 offset0:8 offset1:74
	;; [unrolled: 1-line block ×4, first 2 shown]
	ds_write_b32 v9, v4 offset:2640
	ds_write2_b32 v9, v0, v2 offset1:66
	s_waitcnt lgkmcnt(0)
	s_barrier
	buffer_gl0_inv
	s_and_saveexec_b32 s0, vcc_lo
	s_cbranch_execz .LBB0_25
; %bb.24:
	v_lshl_add_u32 v14, v8, 2, v24
	v_mov_b32_e32 v9, 0
	v_add_co_u32 v15, vcc_lo, s2, v10
	v_add_nc_u32_e32 v0, 0x42, v8
	ds_read2_b32 v[2:3], v14 offset1:66
	v_mov_b32_e32 v1, v9
	v_add_co_ci_u32_e32 v16, vcc_lo, s3, v11, vcc_lo
	ds_read2_b32 v[10:11], v14 offset0:132 offset1:198
	v_lshlrev_b64 v[6:7], 2, v[8:9]
	v_add_nc_u32_e32 v4, 0x84, v8
	v_mov_b32_e32 v5, v9
	v_lshlrev_b64 v[0:1], 2, v[0:1]
	v_add_nc_u32_e32 v17, 0x400, v14
	v_add_nc_u32_e32 v12, 0x108, v8
	v_add_co_u32 v6, vcc_lo, v15, v6
	v_lshlrev_b64 v[4:5], 2, v[4:5]
	v_add_co_ci_u32_e32 v7, vcc_lo, v16, v7, vcc_lo
	v_add_co_u32 v0, vcc_lo, v15, v0
	v_add_co_ci_u32_e32 v1, vcc_lo, v16, v1, vcc_lo
	v_add_co_u32 v4, vcc_lo, v15, v4
	v_add_co_ci_u32_e32 v5, vcc_lo, v16, v5, vcc_lo
	s_waitcnt lgkmcnt(1)
	global_store_dword v[6:7], v2, off
	v_add_nc_u32_e32 v6, 0xc6, v8
	v_mov_b32_e32 v7, v9
	global_store_dword v[0:1], v3, off
	s_waitcnt lgkmcnt(0)
	global_store_dword v[4:5], v10, off
	v_mov_b32_e32 v13, v9
	ds_read2_b32 v[2:3], v17 offset0:8 offset1:74
	v_add_nc_u32_e32 v10, 0x800, v14
	v_lshlrev_b64 v[0:1], 2, v[6:7]
	v_add_nc_u32_e32 v6, 0x14a, v8
	v_lshlrev_b64 v[4:5], 2, v[12:13]
	v_add_nc_u32_e32 v12, 0x18c, v8
	v_add_co_u32 v0, vcc_lo, v15, v0
	v_lshlrev_b64 v[6:7], 2, v[6:7]
	v_add_co_ci_u32_e32 v1, vcc_lo, v16, v1, vcc_lo
	v_add_co_u32 v4, vcc_lo, v15, v4
	v_add_co_ci_u32_e32 v5, vcc_lo, v16, v5, vcc_lo
	v_add_co_u32 v6, vcc_lo, v15, v6
	v_add_co_ci_u32_e32 v7, vcc_lo, v16, v7, vcc_lo
	global_store_dword v[0:1], v11, off
	s_waitcnt lgkmcnt(0)
	global_store_dword v[4:5], v2, off
	global_store_dword v[6:7], v3, off
	v_add_nc_u32_e32 v4, 0x1ce, v8
	v_mov_b32_e32 v5, v9
	v_lshlrev_b64 v[2:3], 2, v[12:13]
	ds_read2_b32 v[0:1], v17 offset0:140 offset1:206
	v_add_nc_u32_e32 v6, 0x210, v8
	v_mov_b32_e32 v7, v9
	v_lshlrev_b64 v[4:5], 2, v[4:5]
	ds_read2_b32 v[10:11], v10 offset0:16 offset1:82
	v_add_nc_u32_e32 v12, 0x252, v8
	ds_read_b32 v14, v14 offset:2640
	v_add_co_u32 v2, vcc_lo, v15, v2
	v_lshlrev_b64 v[6:7], 2, v[6:7]
	v_add_nc_u32_e32 v8, 0x294, v8
	v_add_co_ci_u32_e32 v3, vcc_lo, v16, v3, vcc_lo
	v_add_co_u32 v4, vcc_lo, v15, v4
	v_lshlrev_b64 v[12:13], 2, v[12:13]
	v_add_co_ci_u32_e32 v5, vcc_lo, v16, v5, vcc_lo
	v_add_co_u32 v6, vcc_lo, v15, v6
	v_lshlrev_b64 v[8:9], 2, v[8:9]
	v_add_co_ci_u32_e32 v7, vcc_lo, v16, v7, vcc_lo
	v_add_co_u32 v12, vcc_lo, v15, v12
	v_add_co_ci_u32_e32 v13, vcc_lo, v16, v13, vcc_lo
	v_add_co_u32 v8, vcc_lo, v15, v8
	v_add_co_ci_u32_e32 v9, vcc_lo, v16, v9, vcc_lo
	s_waitcnt lgkmcnt(2)
	global_store_dword v[2:3], v0, off
	global_store_dword v[4:5], v1, off
	s_waitcnt lgkmcnt(1)
	global_store_dword v[6:7], v10, off
	global_store_dword v[12:13], v11, off
	s_waitcnt lgkmcnt(0)
	global_store_dword v[8:9], v14, off
.LBB0_25:
	s_endpgm
	.section	.rodata,"a",@progbits
	.p2align	6, 0x0
	.amdhsa_kernel fft_rtc_fwd_len726_factors_11_6_11_wgs_132_tpt_66_half_ip_CI_unitstride_sbrr_C2R_dirReg
		.amdhsa_group_segment_fixed_size 0
		.amdhsa_private_segment_fixed_size 0
		.amdhsa_kernarg_size 88
		.amdhsa_user_sgpr_count 6
		.amdhsa_user_sgpr_private_segment_buffer 1
		.amdhsa_user_sgpr_dispatch_ptr 0
		.amdhsa_user_sgpr_queue_ptr 0
		.amdhsa_user_sgpr_kernarg_segment_ptr 1
		.amdhsa_user_sgpr_dispatch_id 0
		.amdhsa_user_sgpr_flat_scratch_init 0
		.amdhsa_user_sgpr_private_segment_size 0
		.amdhsa_wavefront_size32 1
		.amdhsa_uses_dynamic_stack 0
		.amdhsa_system_sgpr_private_segment_wavefront_offset 0
		.amdhsa_system_sgpr_workgroup_id_x 1
		.amdhsa_system_sgpr_workgroup_id_y 0
		.amdhsa_system_sgpr_workgroup_id_z 0
		.amdhsa_system_sgpr_workgroup_info 0
		.amdhsa_system_vgpr_workitem_id 0
		.amdhsa_next_free_vgpr 125
		.amdhsa_next_free_sgpr 21
		.amdhsa_reserve_vcc 1
		.amdhsa_reserve_flat_scratch 0
		.amdhsa_float_round_mode_32 0
		.amdhsa_float_round_mode_16_64 0
		.amdhsa_float_denorm_mode_32 3
		.amdhsa_float_denorm_mode_16_64 3
		.amdhsa_dx10_clamp 1
		.amdhsa_ieee_mode 1
		.amdhsa_fp16_overflow 0
		.amdhsa_workgroup_processor_mode 1
		.amdhsa_memory_ordered 1
		.amdhsa_forward_progress 0
		.amdhsa_shared_vgpr_count 0
		.amdhsa_exception_fp_ieee_invalid_op 0
		.amdhsa_exception_fp_denorm_src 0
		.amdhsa_exception_fp_ieee_div_zero 0
		.amdhsa_exception_fp_ieee_overflow 0
		.amdhsa_exception_fp_ieee_underflow 0
		.amdhsa_exception_fp_ieee_inexact 0
		.amdhsa_exception_int_div_zero 0
	.end_amdhsa_kernel
	.text
.Lfunc_end0:
	.size	fft_rtc_fwd_len726_factors_11_6_11_wgs_132_tpt_66_half_ip_CI_unitstride_sbrr_C2R_dirReg, .Lfunc_end0-fft_rtc_fwd_len726_factors_11_6_11_wgs_132_tpt_66_half_ip_CI_unitstride_sbrr_C2R_dirReg
                                        ; -- End function
	.section	.AMDGPU.csdata,"",@progbits
; Kernel info:
; codeLenInByte = 9500
; NumSgprs: 23
; NumVgprs: 125
; ScratchSize: 0
; MemoryBound: 0
; FloatMode: 240
; IeeeMode: 1
; LDSByteSize: 0 bytes/workgroup (compile time only)
; SGPRBlocks: 2
; VGPRBlocks: 15
; NumSGPRsForWavesPerEU: 23
; NumVGPRsForWavesPerEU: 125
; Occupancy: 8
; WaveLimiterHint : 1
; COMPUTE_PGM_RSRC2:SCRATCH_EN: 0
; COMPUTE_PGM_RSRC2:USER_SGPR: 6
; COMPUTE_PGM_RSRC2:TRAP_HANDLER: 0
; COMPUTE_PGM_RSRC2:TGID_X_EN: 1
; COMPUTE_PGM_RSRC2:TGID_Y_EN: 0
; COMPUTE_PGM_RSRC2:TGID_Z_EN: 0
; COMPUTE_PGM_RSRC2:TIDIG_COMP_CNT: 0
	.text
	.p2alignl 6, 3214868480
	.fill 48, 4, 3214868480
	.type	__hip_cuid_afa03ea0ed457a23,@object ; @__hip_cuid_afa03ea0ed457a23
	.section	.bss,"aw",@nobits
	.globl	__hip_cuid_afa03ea0ed457a23
__hip_cuid_afa03ea0ed457a23:
	.byte	0                               ; 0x0
	.size	__hip_cuid_afa03ea0ed457a23, 1

	.ident	"AMD clang version 19.0.0git (https://github.com/RadeonOpenCompute/llvm-project roc-6.4.0 25133 c7fe45cf4b819c5991fe208aaa96edf142730f1d)"
	.section	".note.GNU-stack","",@progbits
	.addrsig
	.addrsig_sym __hip_cuid_afa03ea0ed457a23
	.amdgpu_metadata
---
amdhsa.kernels:
  - .args:
      - .actual_access:  read_only
        .address_space:  global
        .offset:         0
        .size:           8
        .value_kind:     global_buffer
      - .offset:         8
        .size:           8
        .value_kind:     by_value
      - .actual_access:  read_only
        .address_space:  global
        .offset:         16
        .size:           8
        .value_kind:     global_buffer
      - .actual_access:  read_only
        .address_space:  global
        .offset:         24
        .size:           8
        .value_kind:     global_buffer
      - .offset:         32
        .size:           8
        .value_kind:     by_value
      - .actual_access:  read_only
        .address_space:  global
        .offset:         40
        .size:           8
        .value_kind:     global_buffer
      - .actual_access:  read_only
        .address_space:  global
        .offset:         48
        .size:           8
        .value_kind:     global_buffer
      - .offset:         56
        .size:           4
        .value_kind:     by_value
      - .actual_access:  read_only
        .address_space:  global
        .offset:         64
        .size:           8
        .value_kind:     global_buffer
      - .actual_access:  read_only
        .address_space:  global
        .offset:         72
        .size:           8
        .value_kind:     global_buffer
      - .address_space:  global
        .offset:         80
        .size:           8
        .value_kind:     global_buffer
    .group_segment_fixed_size: 0
    .kernarg_segment_align: 8
    .kernarg_segment_size: 88
    .language:       OpenCL C
    .language_version:
      - 2
      - 0
    .max_flat_workgroup_size: 132
    .name:           fft_rtc_fwd_len726_factors_11_6_11_wgs_132_tpt_66_half_ip_CI_unitstride_sbrr_C2R_dirReg
    .private_segment_fixed_size: 0
    .sgpr_count:     23
    .sgpr_spill_count: 0
    .symbol:         fft_rtc_fwd_len726_factors_11_6_11_wgs_132_tpt_66_half_ip_CI_unitstride_sbrr_C2R_dirReg.kd
    .uniform_work_group_size: 1
    .uses_dynamic_stack: false
    .vgpr_count:     125
    .vgpr_spill_count: 0
    .wavefront_size: 32
    .workgroup_processor_mode: 1
amdhsa.target:   amdgcn-amd-amdhsa--gfx1030
amdhsa.version:
  - 1
  - 2
...

	.end_amdgpu_metadata
